;; amdgpu-corpus repo=ROCm/rocFFT kind=compiled arch=gfx1201 opt=O3
	.text
	.amdgcn_target "amdgcn-amd-amdhsa--gfx1201"
	.amdhsa_code_object_version 6
	.protected	fft_rtc_back_len968_factors_2_2_2_11_11_wgs_176_tpt_88_sp_ip_CI_sbrr_dirReg ; -- Begin function fft_rtc_back_len968_factors_2_2_2_11_11_wgs_176_tpt_88_sp_ip_CI_sbrr_dirReg
	.globl	fft_rtc_back_len968_factors_2_2_2_11_11_wgs_176_tpt_88_sp_ip_CI_sbrr_dirReg
	.p2align	8
	.type	fft_rtc_back_len968_factors_2_2_2_11_11_wgs_176_tpt_88_sp_ip_CI_sbrr_dirReg,@function
fft_rtc_back_len968_factors_2_2_2_11_11_wgs_176_tpt_88_sp_ip_CI_sbrr_dirReg: ; @fft_rtc_back_len968_factors_2_2_2_11_11_wgs_176_tpt_88_sp_ip_CI_sbrr_dirReg
; %bb.0:
	s_clause 0x2
	s_load_b64 s[12:13], s[0:1], 0x18
	s_load_b128 s[4:7], s[0:1], 0x0
	s_load_b64 s[10:11], s[0:1], 0x50
	v_mul_u32_u24_e32 v1, 0x2e9, v0
	v_mov_b32_e32 v3, 0
	s_delay_alu instid0(VALU_DEP_2) | instskip(SKIP_2) | instid1(VALU_DEP_4)
	v_lshrrev_b32_e32 v26, 16, v1
	v_mov_b32_e32 v1, 0
	v_mov_b32_e32 v2, 0
	;; [unrolled: 1-line block ×3, first 2 shown]
	s_delay_alu instid0(VALU_DEP_4) | instskip(SKIP_3) | instid1(VALU_DEP_1)
	v_lshl_add_u32 v5, ttmp9, 1, v26
	s_wait_kmcnt 0x0
	s_load_b64 s[8:9], s[12:13], 0x0
	v_cmp_lt_u64_e64 s2, s[6:7], 2
	s_and_b32 vcc_lo, exec_lo, s2
	s_cbranch_vccnz .LBB0_8
; %bb.1:
	s_load_b64 s[2:3], s[0:1], 0x10
	v_mov_b32_e32 v1, 0
	v_mov_b32_e32 v2, 0
	s_add_nc_u64 s[14:15], s[12:13], 8
	s_mov_b64 s[16:17], 1
	s_wait_kmcnt 0x0
	s_add_nc_u64 s[18:19], s[2:3], 8
	s_mov_b32 s3, 0
.LBB0_2:                                ; =>This Inner Loop Header: Depth=1
	s_load_b64 s[20:21], s[18:19], 0x0
                                        ; implicit-def: $vgpr7_vgpr8
	s_mov_b32 s2, exec_lo
	s_wait_kmcnt 0x0
	v_or_b32_e32 v4, s21, v6
	s_delay_alu instid0(VALU_DEP_1)
	v_cmpx_ne_u64_e32 0, v[3:4]
	s_wait_alu 0xfffe
	s_xor_b32 s22, exec_lo, s2
	s_cbranch_execz .LBB0_4
; %bb.3:                                ;   in Loop: Header=BB0_2 Depth=1
	s_cvt_f32_u32 s2, s20
	s_cvt_f32_u32 s23, s21
	s_sub_nc_u64 s[26:27], 0, s[20:21]
	s_wait_alu 0xfffe
	s_delay_alu instid0(SALU_CYCLE_1) | instskip(SKIP_1) | instid1(SALU_CYCLE_2)
	s_fmamk_f32 s2, s23, 0x4f800000, s2
	s_wait_alu 0xfffe
	v_s_rcp_f32 s2, s2
	s_delay_alu instid0(TRANS32_DEP_1) | instskip(SKIP_1) | instid1(SALU_CYCLE_2)
	s_mul_f32 s2, s2, 0x5f7ffffc
	s_wait_alu 0xfffe
	s_mul_f32 s23, s2, 0x2f800000
	s_wait_alu 0xfffe
	s_delay_alu instid0(SALU_CYCLE_2) | instskip(SKIP_1) | instid1(SALU_CYCLE_2)
	s_trunc_f32 s23, s23
	s_wait_alu 0xfffe
	s_fmamk_f32 s2, s23, 0xcf800000, s2
	s_cvt_u32_f32 s25, s23
	s_wait_alu 0xfffe
	s_delay_alu instid0(SALU_CYCLE_1) | instskip(SKIP_1) | instid1(SALU_CYCLE_2)
	s_cvt_u32_f32 s24, s2
	s_wait_alu 0xfffe
	s_mul_u64 s[28:29], s[26:27], s[24:25]
	s_wait_alu 0xfffe
	s_mul_hi_u32 s31, s24, s29
	s_mul_i32 s30, s24, s29
	s_mul_hi_u32 s2, s24, s28
	s_mul_i32 s33, s25, s28
	s_wait_alu 0xfffe
	s_add_nc_u64 s[30:31], s[2:3], s[30:31]
	s_mul_hi_u32 s23, s25, s28
	s_mul_hi_u32 s34, s25, s29
	s_add_co_u32 s2, s30, s33
	s_wait_alu 0xfffe
	s_add_co_ci_u32 s2, s31, s23
	s_mul_i32 s28, s25, s29
	s_add_co_ci_u32 s29, s34, 0
	s_wait_alu 0xfffe
	s_add_nc_u64 s[28:29], s[2:3], s[28:29]
	s_wait_alu 0xfffe
	v_add_co_u32 v4, s2, s24, s28
	s_delay_alu instid0(VALU_DEP_1) | instskip(SKIP_1) | instid1(VALU_DEP_1)
	s_cmp_lg_u32 s2, 0
	s_add_co_ci_u32 s25, s25, s29
	v_readfirstlane_b32 s24, v4
	s_wait_alu 0xfffe
	s_delay_alu instid0(VALU_DEP_1)
	s_mul_u64 s[26:27], s[26:27], s[24:25]
	s_wait_alu 0xfffe
	s_mul_hi_u32 s29, s24, s27
	s_mul_i32 s28, s24, s27
	s_mul_hi_u32 s2, s24, s26
	s_mul_i32 s30, s25, s26
	s_wait_alu 0xfffe
	s_add_nc_u64 s[28:29], s[2:3], s[28:29]
	s_mul_hi_u32 s23, s25, s26
	s_mul_hi_u32 s24, s25, s27
	s_wait_alu 0xfffe
	s_add_co_u32 s2, s28, s30
	s_add_co_ci_u32 s2, s29, s23
	s_mul_i32 s26, s25, s27
	s_add_co_ci_u32 s27, s24, 0
	s_wait_alu 0xfffe
	s_add_nc_u64 s[26:27], s[2:3], s[26:27]
	s_wait_alu 0xfffe
	v_add_co_u32 v4, s2, v4, s26
	s_delay_alu instid0(VALU_DEP_1) | instskip(SKIP_1) | instid1(VALU_DEP_1)
	s_cmp_lg_u32 s2, 0
	s_add_co_ci_u32 s2, s25, s27
	v_mul_hi_u32 v13, v5, v4
	s_wait_alu 0xfffe
	v_mad_co_u64_u32 v[7:8], null, v5, s2, 0
	v_mad_co_u64_u32 v[9:10], null, v6, v4, 0
	;; [unrolled: 1-line block ×3, first 2 shown]
	s_delay_alu instid0(VALU_DEP_3) | instskip(SKIP_1) | instid1(VALU_DEP_4)
	v_add_co_u32 v4, vcc_lo, v13, v7
	s_wait_alu 0xfffd
	v_add_co_ci_u32_e32 v7, vcc_lo, 0, v8, vcc_lo
	s_delay_alu instid0(VALU_DEP_2) | instskip(SKIP_1) | instid1(VALU_DEP_2)
	v_add_co_u32 v4, vcc_lo, v4, v9
	s_wait_alu 0xfffd
	v_add_co_ci_u32_e32 v4, vcc_lo, v7, v10, vcc_lo
	s_wait_alu 0xfffd
	v_add_co_ci_u32_e32 v7, vcc_lo, 0, v12, vcc_lo
	s_delay_alu instid0(VALU_DEP_2) | instskip(SKIP_1) | instid1(VALU_DEP_2)
	v_add_co_u32 v4, vcc_lo, v4, v11
	s_wait_alu 0xfffd
	v_add_co_ci_u32_e32 v9, vcc_lo, 0, v7, vcc_lo
	s_delay_alu instid0(VALU_DEP_2) | instskip(SKIP_1) | instid1(VALU_DEP_3)
	v_mul_lo_u32 v10, s21, v4
	v_mad_co_u64_u32 v[7:8], null, s20, v4, 0
	v_mul_lo_u32 v11, s20, v9
	s_delay_alu instid0(VALU_DEP_2) | instskip(NEXT) | instid1(VALU_DEP_2)
	v_sub_co_u32 v7, vcc_lo, v5, v7
	v_add3_u32 v8, v8, v11, v10
	s_delay_alu instid0(VALU_DEP_1) | instskip(SKIP_1) | instid1(VALU_DEP_1)
	v_sub_nc_u32_e32 v10, v6, v8
	s_wait_alu 0xfffd
	v_subrev_co_ci_u32_e64 v10, s2, s21, v10, vcc_lo
	v_add_co_u32 v11, s2, v4, 2
	s_wait_alu 0xf1ff
	v_add_co_ci_u32_e64 v12, s2, 0, v9, s2
	v_sub_co_u32 v13, s2, v7, s20
	v_sub_co_ci_u32_e32 v8, vcc_lo, v6, v8, vcc_lo
	s_wait_alu 0xf1ff
	v_subrev_co_ci_u32_e64 v10, s2, 0, v10, s2
	s_delay_alu instid0(VALU_DEP_3) | instskip(NEXT) | instid1(VALU_DEP_3)
	v_cmp_le_u32_e32 vcc_lo, s20, v13
	v_cmp_eq_u32_e64 s2, s21, v8
	s_wait_alu 0xfffd
	v_cndmask_b32_e64 v13, 0, -1, vcc_lo
	v_cmp_le_u32_e32 vcc_lo, s21, v10
	s_wait_alu 0xfffd
	v_cndmask_b32_e64 v14, 0, -1, vcc_lo
	v_cmp_le_u32_e32 vcc_lo, s20, v7
	;; [unrolled: 3-line block ×3, first 2 shown]
	s_wait_alu 0xfffd
	v_cndmask_b32_e64 v15, 0, -1, vcc_lo
	v_cmp_eq_u32_e32 vcc_lo, s21, v10
	s_wait_alu 0xf1ff
	s_delay_alu instid0(VALU_DEP_2)
	v_cndmask_b32_e64 v7, v15, v7, s2
	s_wait_alu 0xfffd
	v_cndmask_b32_e32 v10, v14, v13, vcc_lo
	v_add_co_u32 v13, vcc_lo, v4, 1
	s_wait_alu 0xfffd
	v_add_co_ci_u32_e32 v14, vcc_lo, 0, v9, vcc_lo
	s_delay_alu instid0(VALU_DEP_3) | instskip(SKIP_2) | instid1(VALU_DEP_3)
	v_cmp_ne_u32_e32 vcc_lo, 0, v10
	s_wait_alu 0xfffd
	v_cndmask_b32_e32 v10, v13, v11, vcc_lo
	v_cndmask_b32_e32 v8, v14, v12, vcc_lo
	v_cmp_ne_u32_e32 vcc_lo, 0, v7
	s_wait_alu 0xfffd
	s_delay_alu instid0(VALU_DEP_2)
	v_dual_cndmask_b32 v7, v4, v10 :: v_dual_cndmask_b32 v8, v9, v8
.LBB0_4:                                ;   in Loop: Header=BB0_2 Depth=1
	s_wait_alu 0xfffe
	s_and_not1_saveexec_b32 s2, s22
	s_cbranch_execz .LBB0_6
; %bb.5:                                ;   in Loop: Header=BB0_2 Depth=1
	v_cvt_f32_u32_e32 v4, s20
	s_sub_co_i32 s22, 0, s20
	s_delay_alu instid0(VALU_DEP_1) | instskip(NEXT) | instid1(TRANS32_DEP_1)
	v_rcp_iflag_f32_e32 v4, v4
	v_mul_f32_e32 v4, 0x4f7ffffe, v4
	s_delay_alu instid0(VALU_DEP_1) | instskip(SKIP_1) | instid1(VALU_DEP_1)
	v_cvt_u32_f32_e32 v4, v4
	s_wait_alu 0xfffe
	v_mul_lo_u32 v7, s22, v4
	s_delay_alu instid0(VALU_DEP_1) | instskip(NEXT) | instid1(VALU_DEP_1)
	v_mul_hi_u32 v7, v4, v7
	v_add_nc_u32_e32 v4, v4, v7
	s_delay_alu instid0(VALU_DEP_1) | instskip(NEXT) | instid1(VALU_DEP_1)
	v_mul_hi_u32 v4, v5, v4
	v_mul_lo_u32 v7, v4, s20
	v_add_nc_u32_e32 v8, 1, v4
	s_delay_alu instid0(VALU_DEP_2) | instskip(NEXT) | instid1(VALU_DEP_1)
	v_sub_nc_u32_e32 v7, v5, v7
	v_subrev_nc_u32_e32 v9, s20, v7
	v_cmp_le_u32_e32 vcc_lo, s20, v7
	s_wait_alu 0xfffd
	s_delay_alu instid0(VALU_DEP_2) | instskip(NEXT) | instid1(VALU_DEP_1)
	v_dual_cndmask_b32 v7, v7, v9 :: v_dual_cndmask_b32 v4, v4, v8
	v_cmp_le_u32_e32 vcc_lo, s20, v7
	s_delay_alu instid0(VALU_DEP_2) | instskip(SKIP_1) | instid1(VALU_DEP_1)
	v_add_nc_u32_e32 v8, 1, v4
	s_wait_alu 0xfffd
	v_dual_cndmask_b32 v7, v4, v8 :: v_dual_mov_b32 v8, v3
.LBB0_6:                                ;   in Loop: Header=BB0_2 Depth=1
	s_wait_alu 0xfffe
	s_or_b32 exec_lo, exec_lo, s2
	s_load_b64 s[22:23], s[14:15], 0x0
	s_delay_alu instid0(VALU_DEP_1)
	v_mul_lo_u32 v4, v8, s20
	v_mul_lo_u32 v11, v7, s21
	v_mad_co_u64_u32 v[9:10], null, v7, s20, 0
	s_add_nc_u64 s[16:17], s[16:17], 1
	s_add_nc_u64 s[14:15], s[14:15], 8
	s_wait_alu 0xfffe
	v_cmp_ge_u64_e64 s2, s[16:17], s[6:7]
	s_add_nc_u64 s[18:19], s[18:19], 8
	s_delay_alu instid0(VALU_DEP_2) | instskip(NEXT) | instid1(VALU_DEP_3)
	v_add3_u32 v4, v10, v11, v4
	v_sub_co_u32 v5, vcc_lo, v5, v9
	s_wait_alu 0xfffd
	s_delay_alu instid0(VALU_DEP_2) | instskip(SKIP_3) | instid1(VALU_DEP_2)
	v_sub_co_ci_u32_e32 v4, vcc_lo, v6, v4, vcc_lo
	s_and_b32 vcc_lo, exec_lo, s2
	s_wait_kmcnt 0x0
	v_mul_lo_u32 v6, s23, v5
	v_mul_lo_u32 v4, s22, v4
	v_mad_co_u64_u32 v[1:2], null, s22, v5, v[1:2]
	s_delay_alu instid0(VALU_DEP_1)
	v_add3_u32 v2, v6, v2, v4
	s_wait_alu 0xfffe
	s_cbranch_vccnz .LBB0_9
; %bb.7:                                ;   in Loop: Header=BB0_2 Depth=1
	v_dual_mov_b32 v5, v7 :: v_dual_mov_b32 v6, v8
	s_branch .LBB0_2
.LBB0_8:
	v_dual_mov_b32 v8, v6 :: v_dual_mov_b32 v7, v5
.LBB0_9:
	s_lshl_b64 s[2:3], s[6:7], 3
	v_mul_hi_u32 v3, 0x2e8ba2f, v0
	s_wait_alu 0xfffe
	s_add_nc_u64 s[2:3], s[12:13], s[2:3]
	s_load_b64 s[0:1], s[0:1], 0x20
	s_load_b64 s[2:3], s[2:3], 0x0
	s_delay_alu instid0(VALU_DEP_1) | instskip(NEXT) | instid1(VALU_DEP_1)
	v_mul_u32_u24_e32 v3, 0x58, v3
	v_sub_nc_u32_e32 v29, v0, v3
	s_delay_alu instid0(VALU_DEP_1)
	v_add_nc_u32_e32 v27, 0x58, v29
	v_add_nc_u32_e32 v37, 0xb0, v29
	;; [unrolled: 1-line block ×4, first 2 shown]
	s_wait_kmcnt 0x0
	v_cmp_gt_u64_e32 vcc_lo, s[0:1], v[7:8]
	v_mul_lo_u32 v3, s2, v8
	v_mul_lo_u32 v4, s3, v7
	v_mad_co_u64_u32 v[0:1], null, s2, v7, v[1:2]
	v_cmp_le_u64_e64 s0, s[0:1], v[7:8]
                                        ; implicit-def: $sgpr2
                                        ; implicit-def: $sgpr3
	s_delay_alu instid0(VALU_DEP_2) | instskip(NEXT) | instid1(VALU_DEP_2)
	v_add3_u32 v1, v4, v1, v3
	s_and_saveexec_b32 s1, s0
	s_wait_alu 0xfffe
	s_xor_b32 s0, exec_lo, s1
; %bb.10:
	v_add_nc_u32_e32 v27, 0x58, v29
	v_add_nc_u32_e32 v37, 0xb0, v29
	;; [unrolled: 1-line block ×4, first 2 shown]
	s_mov_b32 s3, 0
	s_mov_b32 s2, 0
; %bb.11:
	s_wait_alu 0xfffe
	s_or_saveexec_b32 s1, s0
	v_lshlrev_b64_e32 v[20:21], 3, v[0:1]
	v_dual_mov_b32 v9, s3 :: v_dual_mov_b32 v28, s2
	v_mov_b32_e32 v8, s3
                                        ; implicit-def: $vgpr3
                                        ; implicit-def: $vgpr7
                                        ; implicit-def: $vgpr1
                                        ; implicit-def: $vgpr5
                                        ; implicit-def: $vgpr11
                                        ; implicit-def: $vgpr19
                                        ; implicit-def: $vgpr15
                                        ; implicit-def: $vgpr13
                                        ; implicit-def: $vgpr25
                                        ; implicit-def: $vgpr17
                                        ; implicit-def: $vgpr23
	s_wait_alu 0xfffe
	s_xor_b32 exec_lo, exec_lo, s1
	s_cbranch_execz .LBB0_15
; %bb.12:
	v_add_nc_u32_e32 v8, 0x1e4, v29
	v_mad_co_u64_u32 v[0:1], null, s8, v29, 0
	v_mad_co_u64_u32 v[4:5], null, s8, v27, 0
	s_delay_alu instid0(VALU_DEP_3)
	v_mad_co_u64_u32 v[2:3], null, s8, v8, 0
	v_add_nc_u32_e32 v10, 0x23c, v29
	v_add_co_u32 v25, s0, s10, v20
	s_wait_alu 0xf1ff
	v_add_co_ci_u32_e64 v28, s0, s11, v21, s0
	s_mov_b32 s2, exec_lo
	s_delay_alu instid0(VALU_DEP_4) | instskip(SKIP_2) | instid1(VALU_DEP_2)
	v_mad_co_u64_u32 v[6:7], null, s9, v29, v[1:2]
	v_mov_b32_e32 v1, v3
	v_dual_mov_b32 v3, v5 :: v_dual_add_nc_u32 v30, 0x2ec, v29
	v_mad_co_u64_u32 v[7:8], null, s9, v8, v[1:2]
	v_mad_co_u64_u32 v[8:9], null, s8, v10, 0
	v_mov_b32_e32 v1, v6
	s_delay_alu instid0(VALU_DEP_4) | instskip(NEXT) | instid1(VALU_DEP_3)
	v_mad_co_u64_u32 v[5:6], null, s9, v27, v[3:4]
	v_dual_mov_b32 v3, v7 :: v_dual_mov_b32 v6, v9
	s_delay_alu instid0(VALU_DEP_3) | instskip(NEXT) | instid1(VALU_DEP_2)
	v_lshlrev_b64_e32 v[0:1], 3, v[0:1]
	v_lshlrev_b64_e32 v[2:3], 3, v[2:3]
	s_delay_alu instid0(VALU_DEP_3) | instskip(SKIP_1) | instid1(VALU_DEP_4)
	v_mad_co_u64_u32 v[6:7], null, s9, v10, v[6:7]
	v_mad_co_u64_u32 v[10:11], null, s8, v37, 0
	v_add_co_u32 v0, s0, v25, v0
	s_wait_alu 0xf1ff
	v_add_co_ci_u32_e64 v1, s0, v28, v1, s0
	v_add_nc_u32_e32 v7, 0x294, v29
	v_add_co_u32 v12, s0, v25, v2
	s_wait_alu 0xf1ff
	v_add_co_ci_u32_e64 v13, s0, v28, v3, s0
	v_lshlrev_b64_e32 v[2:3], 3, v[4:5]
	v_mov_b32_e32 v4, v11
	v_mad_co_u64_u32 v[14:15], null, s8, v7, 0
	v_mov_b32_e32 v9, v6
	s_delay_alu instid0(VALU_DEP_3) | instskip(SKIP_1) | instid1(VALU_DEP_4)
	v_mad_co_u64_u32 v[4:5], null, s9, v37, v[4:5]
	v_add_co_u32 v16, s0, v25, v2
	v_mov_b32_e32 v5, v15
	s_wait_alu 0xf1ff
	v_add_co_ci_u32_e64 v17, s0, v28, v3, s0
	v_lshlrev_b64_e32 v[2:3], 3, v[8:9]
	v_mov_b32_e32 v11, v4
	v_mad_co_u64_u32 v[22:23], null, s9, v7, v[5:6]
	v_mad_co_u64_u32 v[8:9], null, s8, v38, 0
	;; [unrolled: 1-line block ×3, first 2 shown]
	s_delay_alu instid0(VALU_DEP_4)
	v_lshlrev_b64_e32 v[10:11], 3, v[10:11]
	v_add_co_u32 v18, s0, v25, v2
	s_wait_alu 0xf1ff
	v_add_co_ci_u32_e64 v19, s0, v28, v3, s0
	s_clause 0x3
	global_load_b64 v[2:3], v[0:1], off
	global_load_b64 v[6:7], v[12:13], off
	;; [unrolled: 1-line block ×4, first 2 shown]
	v_mad_co_u64_u32 v[16:17], null, s8, v39, 0
	v_mov_b32_e32 v15, v22
	v_mad_co_u64_u32 v[12:13], null, s9, v38, v[9:10]
	v_dual_mov_b32 v9, v24 :: v_dual_add_nc_u32 v22, 0x344, v29
	s_delay_alu instid0(VALU_DEP_3) | instskip(SKIP_1) | instid1(VALU_DEP_3)
	v_lshlrev_b64_e32 v[14:15], 3, v[14:15]
	v_mov_b32_e32 v13, v17
	v_mad_co_u64_u32 v[18:19], null, s9, v30, v[9:10]
	s_delay_alu instid0(VALU_DEP_4)
	v_mad_co_u64_u32 v[30:31], null, s8, v22, 0
	v_add_co_u32 v10, s0, v25, v10
	s_wait_alu 0xf1ff
	v_add_co_ci_u32_e64 v11, s0, v28, v11, s0
	v_mov_b32_e32 v9, v12
	v_mad_co_u64_u32 v[12:13], null, s9, v39, v[13:14]
	v_mov_b32_e32 v13, v31
	v_add_co_u32 v14, s0, v25, v14
	v_mov_b32_e32 v24, v18
	v_lshlrev_b64_e32 v[8:9], 3, v[8:9]
	s_wait_alu 0xf1ff
	v_add_co_ci_u32_e64 v15, s0, v28, v15, s0
	v_mad_co_u64_u32 v[18:19], null, s9, v22, v[13:14]
	v_mov_b32_e32 v17, v12
	v_lshlrev_b64_e32 v[22:23], 3, v[23:24]
	v_add_co_u32 v8, s0, v25, v8
	s_wait_alu 0xf1ff
	v_add_co_ci_u32_e64 v9, s0, v28, v9, s0
	v_mov_b32_e32 v31, v18
	v_lshlrev_b64_e32 v[12:13], 3, v[16:17]
	v_add_co_u32 v16, s0, v25, v22
	s_wait_alu 0xf1ff
	v_add_co_ci_u32_e64 v17, s0, v28, v23, s0
	v_lshlrev_b64_e32 v[18:19], 3, v[30:31]
	s_delay_alu instid0(VALU_DEP_4) | instskip(SKIP_2) | instid1(VALU_DEP_3)
	v_add_co_u32 v12, s0, v25, v12
	s_wait_alu 0xf1ff
	v_add_co_ci_u32_e64 v13, s0, v28, v13, s0
                                        ; implicit-def: $vgpr24
	v_add_co_u32 v30, s0, v25, v18
	s_wait_alu 0xf1ff
	v_add_co_ci_u32_e64 v31, s0, v28, v19, s0
	s_clause 0x5
	global_load_b64 v[10:11], v[10:11], off
	global_load_b64 v[18:19], v[14:15], off
	;; [unrolled: 1-line block ×6, first 2 shown]
	v_dual_mov_b32 v8, 0 :: v_dual_mov_b32 v9, 0
	v_cmpx_gt_u32_e32 44, v29
	s_cbranch_execz .LBB0_14
; %bb.13:
	v_add_nc_u32_e32 v33, 0x39c, v29
	v_add_nc_u32_e32 v32, 0x1b8, v29
	s_delay_alu instid0(VALU_DEP_2) | instskip(NEXT) | instid1(VALU_DEP_2)
	v_mad_co_u64_u32 v[30:31], null, s8, v33, 0
	v_mad_co_u64_u32 v[8:9], null, s8, v32, 0
	s_delay_alu instid0(VALU_DEP_2) | instskip(SKIP_1) | instid1(VALU_DEP_2)
	v_mov_b32_e32 v24, v31
	s_wait_loadcnt 0x5
	v_mad_co_u64_u32 v[31:32], null, s9, v32, v[9:10]
	s_delay_alu instid0(VALU_DEP_2) | instskip(NEXT) | instid1(VALU_DEP_2)
	v_mad_co_u64_u32 v[32:33], null, s9, v33, v[24:25]
	v_mov_b32_e32 v9, v31
	s_delay_alu instid0(VALU_DEP_2) | instskip(NEXT) | instid1(VALU_DEP_2)
	v_mov_b32_e32 v31, v32
	v_lshlrev_b64_e32 v[8:9], 3, v[8:9]
	s_delay_alu instid0(VALU_DEP_2) | instskip(NEXT) | instid1(VALU_DEP_2)
	v_lshlrev_b64_e32 v[30:31], 3, v[30:31]
	v_add_co_u32 v8, s0, v25, v8
	s_wait_alu 0xf1ff
	s_delay_alu instid0(VALU_DEP_3) | instskip(NEXT) | instid1(VALU_DEP_3)
	v_add_co_ci_u32_e64 v9, s0, v28, v9, s0
	v_add_co_u32 v24, s0, v25, v30
	s_wait_alu 0xf1ff
	v_add_co_ci_u32_e64 v25, s0, v28, v31, s0
	s_clause 0x1
	global_load_b64 v[8:9], v[8:9], off
	global_load_b64 v[24:25], v[24:25], off
.LBB0_14:
	s_wait_alu 0xfffe
	s_or_b32 exec_lo, exec_lo, s2
	v_mov_b32_e32 v28, v29
.LBB0_15:
	s_or_b32 exec_lo, exec_lo, s1
	s_wait_loadcnt 0x8
	v_dual_sub_f32 v7, v3, v7 :: v_dual_and_b32 v26, 1, v26
	s_wait_loadcnt 0x4
	v_dual_sub_f32 v30, v0, v4 :: v_dual_sub_f32 v19, v11, v19
	v_dual_sub_f32 v6, v2, v6 :: v_dual_sub_f32 v31, v1, v5
	s_delay_alu instid0(VALU_DEP_3) | instskip(NEXT) | instid1(VALU_DEP_3)
	v_cmp_eq_u32_e64 s0, 1, v26
	v_fma_f32 v32, v0, 2.0, -v30
	s_wait_loadcnt 0x2
	v_dual_sub_f32 v18, v10, v18 :: v_dual_sub_f32 v23, v15, v23
	v_lshlrev_b32_e32 v0, 4, v29
	s_wait_alu 0xf1ff
	v_cndmask_b32_e64 v4, 0, 0x3c8, s0
	v_fma_f32 v2, v2, 2.0, -v6
	v_fma_f32 v3, v3, 2.0, -v7
	v_fma_f32 v34, v10, 2.0, -v18
	v_fma_f32 v35, v11, 2.0, -v19
	v_lshlrev_b32_e32 v36, 3, v4
	s_wait_loadcnt 0x0
	v_dual_sub_f32 v16, v12, v16 :: v_dual_sub_f32 v11, v9, v25
	v_sub_f32_e32 v10, v8, v24
	v_lshl_add_u32 v4, v27, 4, 0
	v_add3_u32 v24, 0, v0, v36
	v_lshl_add_u32 v0, v37, 4, 0
	v_dual_sub_f32 v22, v14, v22 :: v_dual_sub_f32 v17, v13, v17
	v_fma_f32 v33, v1, 2.0, -v31
	v_lshl_add_u32 v1, v38, 4, 0
	v_lshl_add_u32 v5, v39, 4, 0
	v_fma_f32 v8, v8, 2.0, -v10
	v_fma_f32 v9, v9, 2.0, -v11
	ds_store_2addr_b64 v24, v[2:3], v[6:7] offset1:1
	v_add_nc_u32_e32 v2, v4, v36
	v_add_nc_u32_e32 v26, 0x1b8, v29
	v_cmp_gt_u32_e64 s0, 44, v29
	v_add_nc_u32_e32 v3, v0, v36
	v_fma_f32 v14, v14, 2.0, -v22
	v_fma_f32 v15, v15, 2.0, -v23
	v_add_nc_u32_e32 v6, v1, v36
	v_fma_f32 v12, v12, 2.0, -v16
	v_fma_f32 v13, v13, 2.0, -v17
	v_add_nc_u32_e32 v7, v5, v36
	ds_store_2addr_b64 v2, v[32:33], v[30:31] offset1:1
	ds_store_2addr_b64 v3, v[34:35], v[18:19] offset1:1
	;; [unrolled: 1-line block ×4, first 2 shown]
	s_and_saveexec_b32 s1, s0
	s_cbranch_execz .LBB0_17
; %bb.16:
	v_lshlrev_b32_e32 v2, 4, v26
	s_delay_alu instid0(VALU_DEP_1)
	v_add3_u32 v2, 0, v2, v36
	ds_store_2addr_b64 v2, v[8:9], v[10:11] offset1:1
.LBB0_17:
	s_wait_alu 0xfffe
	s_or_b32 exec_lo, exec_lo, s1
	v_lshlrev_b32_e32 v3, 3, v37
	v_lshlrev_b32_e32 v2, 3, v29
	;; [unrolled: 1-line block ×5, first 2 shown]
	v_sub_nc_u32_e32 v15, v0, v3
	v_add3_u32 v35, 0, v2, v36
	v_sub_nc_u32_e32 v7, v1, v7
	v_sub_nc_u32_e32 v5, v5, v14
	;; [unrolled: 1-line block ×3, first 2 shown]
	v_add3_u32 v31, 0, v36, v2
	v_add_nc_u32_e32 v32, v15, v36
	v_add_nc_u32_e32 v2, 0xc00, v35
	;; [unrolled: 1-line block ×6, first 2 shown]
	global_wb scope:SCOPE_SE
	s_wait_dscnt 0x0
	s_barrier_signal -1
	s_barrier_wait -1
	global_inv scope:SCOPE_SE
	ds_load_b64 v[12:13], v31
	ds_load_2addr_b64 v[0:3], v2 offset0:100 offset1:188
	ds_load_b64 v[16:17], v32
	ds_load_2addr_b64 v[4:7], v6 offset0:148 offset1:236
	ds_load_b64 v[18:19], v34
	ds_load_b64 v[14:15], v30
	;; [unrolled: 1-line block ×3, first 2 shown]
	ds_load_b64 v[24:25], v35 offset:6688
	v_lshlrev_b32_e32 v42, 1, v29
	v_lshlrev_b32_e32 v41, 1, v27
	;; [unrolled: 1-line block ×5, first 2 shown]
	s_and_saveexec_b32 s1, s0
	s_cbranch_execz .LBB0_19
; %bb.18:
	ds_load_b64 v[8:9], v35 offset:3520
	ds_load_b64 v[10:11], v35 offset:7392
.LBB0_19:
	s_wait_alu 0xfffe
	s_or_b32 exec_lo, exec_lo, s1
	v_and_b32_e32 v27, 1, v29
	s_delay_alu instid0(VALU_DEP_1)
	v_lshlrev_b32_e32 v39, 3, v27
	global_load_b64 v[43:44], v39, s[4:5]
	v_lshlrev_b32_e32 v39, 1, v26
	global_wb scope:SCOPE_SE
	s_wait_loadcnt_dscnt 0x0
	s_barrier_signal -1
	s_barrier_wait -1
	global_inv scope:SCOPE_SE
	v_mul_f32_e32 v54, v44, v4
	v_mul_f32_e32 v50, v44, v0
	v_and_or_b32 v48, 0x3fc, v37, v27
	v_and_or_b32 v26, 0xfc, v42, v27
	;; [unrolled: 1-line block ×3, first 2 shown]
	v_mul_f32_e32 v53, v44, v5
	s_delay_alu instid0(VALU_DEP_4) | instskip(NEXT) | instid1(VALU_DEP_4)
	v_dual_mul_f32 v49, v44, v1 :: v_dual_lshlrev_b32 v48, 3, v48
	v_lshlrev_b32_e32 v26, 3, v26
	v_and_or_b32 v45, 0x1fc, v41, v27
	s_delay_alu instid0(VALU_DEP_4) | instskip(SKIP_3) | instid1(VALU_DEP_4)
	v_fmac_f32_e32 v53, v43, v4
	v_and_or_b32 v47, 0x3fc, v38, v27
	v_dual_mul_f32 v51, v44, v3 :: v_dual_lshlrev_b32 v46, 3, v46
	v_mul_f32_e32 v55, v44, v7
	v_dual_fmac_f32 v49, v43, v0 :: v_dual_sub_f32 v4, v16, v53
	v_mul_f32_e32 v59, v11, v44
	v_dual_mul_f32 v56, v44, v6 :: v_dual_lshlrev_b32 v45, 3, v45
	v_dual_mul_f32 v58, v44, v24 :: v_dual_lshlrev_b32 v47, 3, v47
	v_mul_f32_e32 v52, v44, v2
	v_fmac_f32_e32 v51, v43, v2
	v_dual_mul_f32 v57, v44, v25 :: v_dual_mul_f32 v44, v10, v44
	v_dual_sub_f32 v0, v12, v49 :: v_dual_fmac_f32 v59, v10, v43
	v_fmac_f32_e32 v55, v43, v6
	v_fma_f32 v1, v43, v1, -v50
	s_delay_alu instid0(VALU_DEP_4)
	v_fma_f32 v11, v11, v43, -v44
	v_fma_f32 v3, v43, v3, -v52
	v_sub_f32_e32 v10, v8, v59
	v_fma_f32 v5, v43, v5, -v54
	v_fma_f32 v7, v43, v7, -v56
	;; [unrolled: 1-line block ×3, first 2 shown]
	v_sub_f32_e32 v6, v18, v55
	v_dual_sub_f32 v2, v22, v51 :: v_dual_fmac_f32 v57, v43, v24
	v_sub_f32_e32 v1, v13, v1
	v_sub_f32_e32 v11, v9, v11
	;; [unrolled: 1-line block ×4, first 2 shown]
	v_dual_sub_f32 v7, v19, v7 :: v_dual_sub_f32 v24, v14, v57
	v_sub_f32_e32 v25, v15, v25
	v_add3_u32 v26, 0, v26, v36
	v_fma_f32 v12, v12, 2.0, -v0
	v_fma_f32 v13, v13, 2.0, -v1
	;; [unrolled: 1-line block ×4, first 2 shown]
	v_add3_u32 v45, 0, v45, v36
	v_fma_f32 v22, v22, 2.0, -v2
	v_fma_f32 v23, v23, 2.0, -v3
	v_add3_u32 v46, 0, v46, v36
	v_fma_f32 v16, v16, 2.0, -v4
	v_fma_f32 v17, v17, 2.0, -v5
	;; [unrolled: 3-line block ×4, first 2 shown]
	ds_store_2addr_b64 v26, v[12:13], v[0:1] offset1:2
	ds_store_2addr_b64 v45, v[22:23], v[2:3] offset1:2
	;; [unrolled: 1-line block ×5, first 2 shown]
	s_and_saveexec_b32 s1, s0
	s_cbranch_execz .LBB0_21
; %bb.20:
	v_and_or_b32 v0, 0x3fc, v39, v27
	s_delay_alu instid0(VALU_DEP_1) | instskip(NEXT) | instid1(VALU_DEP_1)
	v_lshlrev_b32_e32 v0, 3, v0
	v_add3_u32 v0, 0, v0, v36
	ds_store_2addr_b64 v0, v[8:9], v[10:11] offset1:2
.LBB0_21:
	s_wait_alu 0xfffe
	s_or_b32 exec_lo, exec_lo, s1
	v_add_nc_u32_e32 v0, 0xc00, v35
	v_add_nc_u32_e32 v1, 0x1000, v35
	global_wb scope:SCOPE_SE
	s_wait_dscnt 0x0
	s_barrier_signal -1
	s_barrier_wait -1
	global_inv scope:SCOPE_SE
	ds_load_b64 v[16:17], v31
	ds_load_2addr_b64 v[4:7], v0 offset0:100 offset1:188
	ds_load_b64 v[12:13], v32
	ds_load_2addr_b64 v[0:3], v1 offset0:148 offset1:236
	ds_load_b64 v[18:19], v34
	ds_load_b64 v[14:15], v30
	;; [unrolled: 1-line block ×3, first 2 shown]
	ds_load_b64 v[26:27], v35 offset:6688
	s_and_saveexec_b32 s1, s0
	s_cbranch_execz .LBB0_23
; %bb.22:
	ds_load_b64 v[8:9], v35 offset:3520
	ds_load_b64 v[10:11], v35 offset:7392
.LBB0_23:
	s_wait_alu 0xfffe
	s_or_b32 exec_lo, exec_lo, s1
	v_and_b32_e32 v43, 3, v29
	s_delay_alu instid0(VALU_DEP_1)
	v_lshlrev_b32_e32 v24, 3, v43
	global_load_b64 v[24:25], v24, s[4:5] offset:16
	global_wb scope:SCOPE_SE
	s_wait_loadcnt_dscnt 0x0
	s_barrier_signal -1
	s_barrier_wait -1
	global_inv scope:SCOPE_SE
	v_mul_f32_e32 v45, v25, v4
	v_mul_f32_e32 v46, v25, v7
	v_and_or_b32 v40, 0x3f8, v40, v43
	v_and_or_b32 v42, 0xf8, v42, v43
	;; [unrolled: 1-line block ×3, first 2 shown]
	v_mul_f32_e32 v53, v25, v26
	v_and_or_b32 v41, 0x1f8, v41, v43
	v_mul_f32_e32 v44, v25, v5
	v_dual_mul_f32 v47, v25, v6 :: v_dual_lshlrev_b32 v40, 3, v40
	v_dual_mul_f32 v49, v25, v0 :: v_dual_lshlrev_b32 v42, 3, v42
	;; [unrolled: 1-line block ×3, first 2 shown]
	v_fma_f32 v27, v24, v27, -v53
	v_mul_f32_e32 v48, v25, v1
	v_dual_mul_f32 v50, v25, v3 :: v_dual_lshlrev_b32 v41, 3, v41
	v_dual_mul_f32 v51, v25, v2 :: v_dual_fmac_f32 v44, v24, v4
	v_and_or_b32 v38, 0x3f8, v38, v43
	v_fma_f32 v4, v24, v5, -v45
	v_fma_f32 v5, v24, v7, -v47
	v_fmac_f32_e32 v46, v24, v6
	v_fma_f32 v6, v24, v1, -v49
	v_dual_sub_f32 v27, v15, v27 :: v_dual_fmac_f32 v48, v24, v0
	v_fmac_f32_e32 v50, v24, v2
	v_fma_f32 v7, v24, v3, -v51
	v_dual_sub_f32 v3, v23, v5 :: v_dual_fmac_f32 v52, v24, v26
	v_dual_sub_f32 v1, v17, v4 :: v_dual_lshlrev_b32 v38, 3, v38
	v_dual_sub_f32 v0, v16, v44 :: v_dual_sub_f32 v5, v13, v6
	v_sub_f32_e32 v2, v22, v46
	v_sub_f32_e32 v4, v12, v48
	v_dual_sub_f32 v6, v18, v50 :: v_dual_sub_f32 v7, v19, v7
	v_sub_f32_e32 v26, v14, v52
	v_add3_u32 v42, 0, v42, v36
	v_fma_f32 v16, v16, 2.0, -v0
	v_fma_f32 v17, v17, 2.0, -v1
	v_add3_u32 v41, 0, v41, v36
	v_fma_f32 v22, v22, 2.0, -v2
	v_fma_f32 v23, v23, 2.0, -v3
	;; [unrolled: 3-line block ×5, first 2 shown]
	ds_store_2addr_b64 v42, v[16:17], v[0:1] offset1:4
	ds_store_2addr_b64 v41, v[22:23], v[2:3] offset1:4
	;; [unrolled: 1-line block ×5, first 2 shown]
	s_and_saveexec_b32 s1, s0
	s_cbranch_execz .LBB0_25
; %bb.24:
	v_mul_f32_e32 v0, v10, v25
	v_and_or_b32 v3, 0x3f8, v39, v43
	s_delay_alu instid0(VALU_DEP_2) | instskip(SKIP_1) | instid1(VALU_DEP_2)
	v_fma_f32 v0, v11, v24, -v0
	v_mul_f32_e32 v2, v11, v25
	v_dual_sub_f32 v1, v9, v0 :: v_dual_lshlrev_b32 v4, 3, v3
	s_delay_alu instid0(VALU_DEP_2) | instskip(NEXT) | instid1(VALU_DEP_2)
	v_fmac_f32_e32 v2, v10, v24
	v_add3_u32 v4, 0, v4, v36
	s_delay_alu instid0(VALU_DEP_3) | instskip(NEXT) | instid1(VALU_DEP_3)
	v_fma_f32 v3, v9, 2.0, -v1
	v_sub_f32_e32 v0, v8, v2
	s_delay_alu instid0(VALU_DEP_1)
	v_fma_f32 v2, v8, 2.0, -v0
	ds_store_2addr_b64 v4, v[2:3], v[0:1] offset1:4
.LBB0_25:
	s_wait_alu 0xfffe
	s_or_b32 exec_lo, exec_lo, s1
	v_and_b32_e32 v22, 7, v29
	global_wb scope:SCOPE_SE
	s_wait_dscnt 0x0
	s_barrier_signal -1
	s_barrier_wait -1
	global_inv scope:SCOPE_SE
	v_mul_u32_u24_e32 v0, 10, v22
	v_lshrrev_b32_e32 v23, 3, v29
	s_delay_alu instid0(VALU_DEP_2) | instskip(NEXT) | instid1(VALU_DEP_2)
	v_lshlrev_b32_e32 v16, 3, v0
	v_mul_u32_u24_e32 v23, 0x58, v23
	s_clause 0x4
	global_load_b128 v[12:15], v16, s[4:5] offset:48
	global_load_b128 v[8:11], v16, s[4:5] offset:64
	;; [unrolled: 1-line block ×5, first 2 shown]
	ds_load_b64 v[26:27], v33
	ds_load_b64 v[45:46], v32
	ds_load_b64 v[47:48], v34
	ds_load_b64 v[49:50], v30
	v_add_nc_u32_e32 v24, 0xc00, v35
	v_add_nc_u32_e32 v25, 0x1000, v35
	;; [unrolled: 1-line block ×3, first 2 shown]
	v_or_b32_e32 v55, v23, v22
	s_wait_loadcnt_dscnt 0x402
	v_mul_f32_e32 v56, v15, v46
	s_wait_loadcnt_dscnt 0x300
	v_mul_f32_e32 v58, v11, v50
	v_mul_f32_e32 v15, v15, v45
	ds_load_2addr_b32 v[51:52], v24 offset0:112 offset1:113
	ds_load_2addr_b64 v[37:40], v25 offset0:16 offset1:104
	ds_load_b64 v[22:23], v31
	ds_load_b64 v[53:54], v35 offset:7040
	ds_load_2addr_b64 v[41:44], v41 offset0:64 offset1:152
	v_dual_fmac_f32 v56, v14, v45 :: v_dual_lshlrev_b32 v55, 3, v55
	v_mul_f32_e32 v57, v9, v48
	v_dual_mul_f32 v9, v9, v47 :: v_dual_fmac_f32 v58, v10, v49
	v_mul_f32_e32 v11, v11, v49
	s_delay_alu instid0(VALU_DEP_4)
	v_add3_u32 v36, 0, v55, v36
	v_mul_f32_e32 v55, v13, v27
	v_mul_f32_e32 v13, v13, v26
	global_wb scope:SCOPE_SE
	s_wait_loadcnt_dscnt 0x0
	s_barrier_signal -1
	s_barrier_wait -1
	global_inv scope:SCOPE_SE
	v_dual_mul_f32 v60, v38, v7 :: v_dual_mul_f32 v61, v40, v1
	v_dual_mul_f32 v59, v52, v5 :: v_dual_mul_f32 v64, v54, v19
	;; [unrolled: 1-line block ×3, first 2 shown]
	v_fmac_f32_e32 v57, v8, v47
	v_fma_f32 v8, v8, v48, -v9
	v_fma_f32 v9, v10, v50, -v11
	v_dual_fmac_f32 v60, v37, v6 :: v_dual_fmac_f32 v61, v39, v0
	v_fmac_f32_e32 v62, v41, v2
	v_fma_f32 v0, v40, v0, -v1
	v_dual_mul_f32 v63, v44, v17 :: v_dual_fmac_f32 v64, v53, v18
	v_fmac_f32_e32 v55, v12, v26
	v_fma_f32 v12, v12, v27, -v13
	s_delay_alu instid0(VALU_DEP_4)
	v_add_f32_e32 v40, v9, v0
	v_mul_f32_e32 v5, v5, v51
	v_mul_f32_e32 v7, v37, v7
	v_dual_mul_f32 v3, v41, v3 :: v_dual_sub_f32 v10, v55, v64
	v_fma_f32 v13, v14, v46, -v15
	v_dual_fmac_f32 v59, v4, v51 :: v_dual_mul_f32 v84, 0xbf75a155, v40
	s_delay_alu instid0(VALU_DEP_3)
	v_fma_f32 v1, v42, v2, -v3
	v_add_f32_e32 v2, v55, v22
	v_fma_f32 v4, v52, v4, -v5
	v_fma_f32 v5, v38, v6, -v7
	v_fmac_f32_e32 v63, v43, v16
	v_mul_f32_e32 v17, v43, v17
	v_dual_add_f32 v3, v12, v23 :: v_dual_add_f32 v2, v2, v56
	s_delay_alu instid0(VALU_DEP_4) | instskip(SKIP_3) | instid1(VALU_DEP_4)
	v_dual_sub_f32 v42, v4, v5 :: v_dual_mul_f32 v19, v53, v19
	v_add_f32_e32 v38, v58, v61
	v_add_f32_e32 v6, v55, v64
	v_mul_f32_e32 v83, 0x3f575c64, v40
	v_mul_f32_e32 v85, 0xbe903f40, v42
	v_fma_f32 v26, v54, v18, -v19
	v_mul_f32_e32 v88, 0x3f68dda4, v42
	s_delay_alu instid0(VALU_DEP_2) | instskip(SKIP_4) | instid1(VALU_DEP_2)
	v_add_f32_e32 v7, v12, v26
	v_sub_f32_e32 v11, v12, v26
	v_add_f32_e32 v12, v56, v63
	v_fma_f32 v18, v44, v16, -v17
	v_add_f32_e32 v44, v4, v5
	v_add_f32_e32 v14, v13, v18
	v_dual_sub_f32 v16, v13, v18 :: v_dual_sub_f32 v15, v56, v63
	v_sub_f32_e32 v37, v8, v1
	s_delay_alu instid0(VALU_DEP_3) | instskip(SKIP_1) | instid1(VALU_DEP_4)
	v_dual_sub_f32 v39, v9, v0 :: v_dual_mul_f32 v66, 0xbf75a155, v14
	v_mul_f32_e32 v54, 0x3ed4b147, v14
	v_mul_f32_e32 v53, 0xbf68dda4, v16
	;; [unrolled: 1-line block ×5, first 2 shown]
	v_dual_mul_f32 v67, 0x3f7d64f0, v16 :: v_dual_mul_f32 v78, 0x3f7d64f0, v39
	v_dual_mul_f32 v16, 0x3f0a6770, v16 :: v_dual_sub_f32 v27, v57, v62
	v_dual_mul_f32 v52, 0xbf27a4f4, v7 :: v_dual_add_f32 v17, v57, v62
	v_dual_mul_f32 v48, 0x3ed4b147, v7 :: v_dual_add_f32 v19, v8, v1
	v_dual_mul_f32 v50, 0xbe11bafb, v7 :: v_dual_add_f32 v3, v3, v13
	v_mul_f32_e32 v46, 0x3f575c64, v7
	v_mul_f32_e32 v51, 0xbf4178ce, v11
	v_fmamk_f32 v98, v10, 0x3f4178ce, v52
	v_fmac_f32_e32 v52, 0xbf4178ce, v10
	v_dual_mul_f32 v13, 0xbf0a6770, v11 :: v_dual_add_f32 v2, v2, v57
	v_mul_f32_e32 v47, 0xbf68dda4, v11
	v_mul_f32_e32 v49, 0xbf7d64f0, v11
	v_dual_mul_f32 v11, 0xbe903f40, v11 :: v_dual_fmamk_f32 v104, v15, 0xbe903f40, v66
	v_mul_f32_e32 v7, 0xbf75a155, v7
	v_dual_sub_f32 v41, v58, v61 :: v_dual_mul_f32 v68, 0xbe11bafb, v14
	v_dual_add_f32 v43, v59, v60 :: v_dual_mul_f32 v14, 0x3f575c64, v14
	v_mul_f32_e32 v72, 0xbf75a155, v19
	v_mul_f32_e32 v73, 0x3f68dda4, v37
	v_dual_mul_f32 v74, 0x3ed4b147, v19 :: v_dual_add_f32 v3, v3, v8
	s_delay_alu instid0(VALU_DEP_4)
	v_dual_mul_f32 v79, 0xbf0a6770, v39 :: v_dual_fmamk_f32 v108, v15, 0xbf0a6770, v14
	v_mul_f32_e32 v80, 0xbe903f40, v39
	v_dual_mul_f32 v86, 0x3f0a6770, v42 :: v_dual_fmamk_f32 v57, v10, 0x3f0a6770, v46
	v_fmamk_f32 v94, v10, 0x3f68dda4, v48
	v_fmac_f32_e32 v48, 0xbf68dda4, v10
	v_mul_f32_e32 v87, 0xbf4178ce, v42
	v_mul_f32_e32 v42, 0xbf7d64f0, v42
	v_dual_mul_f32 v82, 0xbe11bafb, v40 :: v_dual_fmamk_f32 v95, v6, 0xbe11bafb, v49
	v_dual_fmamk_f32 v97, v6, 0xbf27a4f4, v51 :: v_dual_add_f32 v52, v52, v23
	v_mul_f32_e32 v77, 0xbf4178ce, v39
	v_mul_f32_e32 v39, 0x3f68dda4, v39
	v_dual_sub_f32 v45, v59, v60 :: v_dual_mul_f32 v70, 0xbe11bafb, v19
	v_mul_f32_e32 v69, 0xbf7d64f0, v37
	v_dual_mul_f32 v71, 0x3e903f40, v37 :: v_dual_fmac_f32 v66, 0x3e903f40, v15
	v_dual_mul_f32 v75, 0xbf0a6770, v37 :: v_dual_fmac_f32 v46, 0xbf0a6770, v10
	v_mul_f32_e32 v76, 0x3f575c64, v19
	v_mul_f32_e32 v19, 0xbf27a4f4, v19
	;; [unrolled: 1-line block ×3, first 2 shown]
	v_dual_mul_f32 v40, 0x3ed4b147, v40 :: v_dual_fmamk_f32 v93, v6, 0x3ed4b147, v47
	v_dual_mul_f32 v89, 0xbf75a155, v44 :: v_dual_fmamk_f32 v118, v38, 0xbf75a155, v80
	;; [unrolled: 1-line block ×4, first 2 shown]
	v_fmamk_f32 v8, v6, 0x3f575c64, v13
	v_mul_f32_e32 v37, 0xbf4178ce, v37
	v_fma_f32 v13, 0x3f575c64, v6, -v13
	v_fma_f32 v47, 0x3ed4b147, v6, -v47
	v_fmamk_f32 v96, v10, 0x3f7d64f0, v50
	v_fma_f32 v49, 0xbe11bafb, v6, -v49
	v_fmac_f32_e32 v50, 0xbf7d64f0, v10
	v_add_f32_e32 v13, v13, v22
	v_mul_f32_e32 v91, 0xbf27a4f4, v44
	v_dual_mul_f32 v44, 0xbe11bafb, v44 :: v_dual_fmamk_f32 v105, v12, 0xbe11bafb, v67
	v_fma_f32 v51, 0xbf27a4f4, v6, -v51
	v_fmamk_f32 v99, v6, 0xbf75a155, v11
	v_fmamk_f32 v100, v10, 0x3e903f40, v7
	v_fma_f32 v6, 0xbf75a155, v6, -v11
	v_dual_fmac_f32 v7, 0xbe903f40, v10 :: v_dual_fmamk_f32 v110, v27, 0xbe903f40, v72
	v_dual_fmamk_f32 v11, v15, 0x3f68dda4, v54 :: v_dual_add_f32 v2, v2, v58
	v_dual_fmamk_f32 v120, v41, 0xbf7d64f0, v82 :: v_dual_add_f32 v3, v3, v9
	v_fmac_f32_e32 v54, 0xbf68dda4, v15
	v_fmamk_f32 v10, v12, 0x3ed4b147, v53
	v_fma_f32 v53, 0x3ed4b147, v12, -v53
	v_dual_fmamk_f32 v103, v12, 0xbf75a155, v65 :: v_dual_add_f32 v6, v6, v22
	v_fma_f32 v65, 0xbf75a155, v12, -v65
	v_fmamk_f32 v106, v15, 0xbf7d64f0, v68
	v_fma_f32 v67, 0xbe11bafb, v12, -v67
	v_dual_fmac_f32 v68, 0x3f7d64f0, v15 :: v_dual_add_f32 v47, v47, v22
	v_dual_fmac_f32 v14, 0x3f0a6770, v15 :: v_dual_fmamk_f32 v121, v41, 0x3f0a6770, v83
	v_dual_fmamk_f32 v109, v17, 0xbf75a155, v71 :: v_dual_add_f32 v2, v2, v59
	v_fma_f32 v71, 0xbf75a155, v17, -v71
	v_fmac_f32_e32 v72, 0x3e903f40, v27
	v_fma_f32 v73, 0x3ed4b147, v17, -v73
	v_dual_fmamk_f32 v113, v17, 0x3f575c64, v75 :: v_dual_fmamk_f32 v124, v43, 0x3f575c64, v86
	v_dual_fmamk_f32 v114, v27, 0x3f0a6770, v76 :: v_dual_add_f32 v9, v100, v23
	v_fma_f32 v75, 0x3f575c64, v17, -v75
	v_dual_fmac_f32 v76, 0xbf0a6770, v27 :: v_dual_fmac_f32 v83, 0xbf0a6770, v41
	v_fmamk_f32 v116, v38, 0xbe11bafb, v78
	v_fma_f32 v78, 0xbe11bafb, v38, -v78
	v_fma_f32 v80, 0xbf75a155, v38, -v80
	v_dual_fmamk_f32 v119, v38, 0x3ed4b147, v39 :: v_dual_fmamk_f32 v126, v43, 0x3ed4b147, v88
	v_dual_fmac_f32 v82, 0x3f7d64f0, v41 :: v_dual_add_f32 v7, v7, v23
	v_dual_fmamk_f32 v122, v41, 0x3e903f40, v84 :: v_dual_add_f32 v3, v3, v4
	v_fma_f32 v86, 0x3f575c64, v43, -v86
	v_fma_f32 v88, 0x3ed4b147, v43, -v88
	v_dual_fmamk_f32 v127, v43, 0xbe11bafb, v42 :: v_dual_add_f32 v2, v2, v60
	v_fma_f32 v42, 0xbe11bafb, v43, -v42
	v_dual_add_f32 v8, v8, v22 :: v_dual_fmamk_f32 v115, v17, 0xbf27a4f4, v37
	v_add_f32_e32 v46, v46, v23
	v_fmamk_f32 v102, v15, 0x3f4178ce, v56
	v_fmac_f32_e32 v56, 0xbf4178ce, v15
	v_fmamk_f32 v101, v12, 0xbf27a4f4, v55
	v_fma_f32 v55, 0xbf27a4f4, v12, -v55
	v_fma_f32 v12, 0x3f575c64, v12, -v16
	v_fmamk_f32 v15, v17, 0xbe11bafb, v69
	v_fmamk_f32 v16, v27, 0x3f7d64f0, v70
	v_fma_f32 v69, 0xbe11bafb, v17, -v69
	v_dual_fmac_f32 v70, 0xbf7d64f0, v27 :: v_dual_add_f32 v49, v49, v22
	v_fma_f32 v17, 0xbf27a4f4, v17, -v37
	v_fmamk_f32 v37, v27, 0x3f4178ce, v19
	v_fmamk_f32 v112, v27, 0xbf68dda4, v74
	v_dual_fmac_f32 v74, 0x3f68dda4, v27 :: v_dual_add_f32 v51, v51, v22
	v_fmac_f32_e32 v19, 0xbf4178ce, v27
	v_fmamk_f32 v27, v38, 0xbf27a4f4, v77
	v_fma_f32 v77, 0xbf27a4f4, v38, -v77
	v_fmamk_f32 v117, v38, 0x3f575c64, v79
	v_fma_f32 v79, 0x3f575c64, v38, -v79
	v_fma_f32 v38, 0x3ed4b147, v38, -v39
	v_fmamk_f32 v39, v41, 0x3f4178ce, v81
	v_fmac_f32_e32 v81, 0xbf4178ce, v41
	v_fmac_f32_e32 v84, 0xbe903f40, v41
	v_fmamk_f32 v123, v41, 0xbf68dda4, v40
	v_fmac_f32_e32 v40, 0x3f68dda4, v41
	v_dual_fmamk_f32 v41, v43, 0xbf75a155, v85 :: v_dual_add_f32 v52, v68, v52
	v_fma_f32 v85, 0xbf75a155, v43, -v85
	v_fmamk_f32 v131, v45, 0x3f7d64f0, v44
	v_dual_fmac_f32 v44, 0xbf7d64f0, v45 :: v_dual_add_f32 v7, v14, v7
	v_dual_add_f32 v48, v48, v23 :: v_dual_fmamk_f32 v125, v43, 0xbf27a4f4, v87
	v_add_f32_e32 v6, v12, v6
	v_fma_f32 v87, 0xbf27a4f4, v43, -v87
	v_fmamk_f32 v43, v45, 0x3e903f40, v89
	v_fmac_f32_e32 v89, 0xbe903f40, v45
	v_fmamk_f32 v128, v45, 0xbf0a6770, v90
	v_fmac_f32_e32 v90, 0x3f0a6770, v45
	v_dual_add_f32 v50, v50, v23 :: v_dual_fmamk_f32 v129, v45, 0x3f4178ce, v91
	v_fmac_f32_e32 v91, 0xbf4178ce, v45
	v_fmamk_f32 v130, v45, 0xbf68dda4, v92
	v_dual_fmac_f32 v92, 0x3f68dda4, v45 :: v_dual_add_f32 v51, v67, v51
	v_add_f32_e32 v45, v57, v23
	v_add_f32_e32 v57, v93, v22
	v_dual_add_f32 v93, v94, v23 :: v_dual_add_f32 v94, v95, v22
	v_dual_add_f32 v95, v96, v23 :: v_dual_add_f32 v96, v97, v22
	v_add_f32_e32 v97, v98, v23
	v_add_f32_e32 v4, v10, v8
	;; [unrolled: 1-line block ×4, first 2 shown]
	v_dual_add_f32 v10, v53, v13 :: v_dual_add_f32 v11, v54, v46
	v_add_f32_e32 v22, v102, v93
	v_add_f32_e32 v13, v101, v57
	;; [unrolled: 1-line block ×3, first 2 shown]
	v_dual_add_f32 v45, v56, v48 :: v_dual_add_f32 v46, v103, v94
	s_delay_alu instid0(VALU_DEP_4) | instskip(SKIP_4) | instid1(VALU_DEP_4)
	v_dual_add_f32 v12, v110, v22 :: v_dual_add_f32 v47, v104, v95
	v_dual_add_f32 v48, v65, v49 :: v_dual_add_f32 v49, v66, v50
	;; [unrolled: 1-line block ×3, first 2 shown]
	v_add_f32_e32 v3, v3, v5
	v_dual_add_f32 v54, v107, v98 :: v_dual_add_f32 v9, v108, v9
	v_add_f32_e32 v22, v73, v48
	v_add_f32_e32 v4, v15, v4
	v_dual_add_f32 v5, v16, v8 :: v_dual_add_f32 v8, v69, v10
	v_add_f32_e32 v10, v70, v11
	v_dual_add_f32 v14, v72, v45 :: v_dual_add_f32 v15, v111, v46
	v_add_f32_e32 v2, v2, v61
	v_add_f32_e32 v16, v112, v47
	v_dual_add_f32 v46, v114, v53 :: v_dual_add_f32 v45, v113, v50
	v_dual_add_f32 v47, v75, v51 :: v_dual_add_f32 v48, v76, v52
	;; [unrolled: 1-line block ×3, first 2 shown]
	v_add_f32_e32 v13, v71, v23
	v_dual_add_f32 v23, v74, v49 :: v_dual_add_f32 v6, v17, v6
	v_add_f32_e32 v49, v115, v54
	v_add_f32_e32 v9, v37, v9
	;; [unrolled: 1-line block ×4, first 2 shown]
	v_dual_add_f32 v4, v39, v5 :: v_dual_add_f32 v5, v77, v8
	v_add_f32_e32 v8, v81, v10
	v_add_f32_e32 v10, v116, v11
	v_dual_add_f32 v11, v120, v12 :: v_dual_add_f32 v38, v38, v6
	v_add_f32_e32 v12, v78, v13
	v_dual_add_f32 v13, v82, v14 :: v_dual_add_f32 v40, v40, v7
	;; [unrolled: 2-line block ×4, first 2 shown]
	v_dual_add_f32 v23, v80, v47 :: v_dual_add_f32 v6, v86, v12
	v_dual_add_f32 v45, v2, v62 :: v_dual_add_f32 v46, v0, v1
	;; [unrolled: 1-line block ×4, first 2 shown]
	v_add_f32_e32 v27, v84, v48
	v_dual_add_f32 v1, v43, v4 :: v_dual_add_f32 v2, v85, v5
	v_dual_add_f32 v4, v124, v10 :: v_dual_add_f32 v3, v89, v8
	;; [unrolled: 1-line block ×5, first 2 shown]
	v_add_f32_e32 v9, v129, v15
	v_dual_add_f32 v14, v88, v23 :: v_dual_add_f32 v23, v46, v18
	v_add_f32_e32 v11, v91, v17
	v_add_f32_e32 v16, v127, v37
	;; [unrolled: 1-line block ×3, first 2 shown]
	v_dual_add_f32 v15, v92, v27 :: v_dual_add_f32 v18, v42, v38
	v_add_f32_e32 v19, v44, v40
	ds_store_2addr_b64 v36, v[4:5], v[8:9] offset0:16 offset1:24
	v_dual_add_f32 v4, v22, v64 :: v_dual_add_f32 v5, v23, v26
	ds_store_2addr_b64 v36, v[12:13], v[16:17] offset0:32 offset1:40
	ds_store_2addr_b64 v36, v[18:19], v[14:15] offset0:48 offset1:56
	;; [unrolled: 1-line block ×3, first 2 shown]
	ds_store_b64 v36, v[2:3] offset:640
	ds_store_2addr_b64 v36, v[4:5], v[0:1] offset1:8
	global_wb scope:SCOPE_SE
	s_wait_dscnt 0x0
	s_barrier_signal -1
	s_barrier_wait -1
	global_inv scope:SCOPE_SE
	s_and_saveexec_b32 s0, vcc_lo
	s_cbranch_execz .LBB0_27
; %bb.26:
	v_mul_u32_u24_e32 v0, 10, v29
	v_add_nc_u32_e32 v60, 0x108, v28
	v_mad_co_u64_u32 v[46:47], null, s8, v28, 0
	s_delay_alu instid0(VALU_DEP_3) | instskip(NEXT) | instid1(VALU_DEP_3)
	v_lshlrev_b32_e32 v0, 3, v0
	v_mad_co_u64_u32 v[52:53], null, s8, v60, 0
	v_add_nc_u32_e32 v57, 0x58, v28
	s_delay_alu instid0(VALU_DEP_1)
	v_mad_co_u64_u32 v[48:49], null, s8, v57, 0
	v_dual_mov_b32 v35, v47 :: v_dual_add_nc_u32 v40, 0x1800, v35
	s_clause 0x4
	global_load_b128 v[2:5], v0, s[4:5] offset:688
	global_load_b128 v[6:9], v0, s[4:5] offset:752
	;; [unrolled: 1-line block ×5, first 2 shown]
	ds_load_b64 v[18:19], v34
	ds_load_b64 v[26:27], v32
	;; [unrolled: 1-line block ×4, first 2 shown]
	ds_load_2addr_b64 v[31:34], v25 offset0:104 offset1:192
	ds_load_b64 v[29:30], v30
	ds_load_2addr_b64 v[22:25], v24 offset0:56 offset1:144
	v_add_nc_u32_e32 v59, 0xb0, v28
	s_delay_alu instid0(VALU_DEP_1) | instskip(SKIP_1) | instid1(VALU_DEP_1)
	v_mad_co_u64_u32 v[50:51], null, s8, v59, 0
	s_wait_loadcnt_dscnt 0x201
	v_dual_mov_b32 v47, v51 :: v_dual_mul_f32 v62, v13, v30
	s_wait_loadcnt 0x0
	v_mad_co_u64_u32 v[54:55], null, s9, v28, v[35:36]
	v_mov_b32_e32 v35, v49
	ds_load_2addr_b64 v[40:43], v40 offset0:24 offset1:112
	s_wait_dscnt 0x1
	v_dual_mul_f32 v64, v37, v23 :: v_dual_add_nc_u32 v61, 0x160, v28
	v_mul_f32_e32 v63, v15, v32
	v_mad_co_u64_u32 v[57:58], null, s9, v57, v[35:36]
	s_delay_alu instid0(VALU_DEP_3) | instskip(NEXT) | instid1(VALU_DEP_4)
	v_mad_co_u64_u32 v[55:56], null, s8, v61, 0
	v_fmac_f32_e32 v64, v36, v22
	v_mad_co_u64_u32 v[58:59], null, s9, v59, v[47:48]
	v_add_co_u32 v35, vcc_lo, s10, v20
	s_wait_alu 0xfffd
	v_add_co_ci_u32_e32 v59, vcc_lo, s11, v21, vcc_lo
	v_dual_mov_b32 v20, v53 :: v_dual_mov_b32 v21, v56
	v_dual_mov_b32 v47, v54 :: v_dual_mul_f32 v56, v5, v27
	v_dual_mov_b32 v51, v58 :: v_dual_mul_f32 v58, v11, v19
	s_delay_alu instid0(VALU_DEP_3)
	v_mad_co_u64_u32 v[53:54], null, s9, v60, v[20:21]
	v_mul_f32_e32 v60, v17, v34
	v_mul_f32_e32 v20, v3, v45
	s_wait_dscnt 0x0
	v_dual_mul_f32 v54, v9, v43 :: v_dual_mul_f32 v9, v42, v9
	v_mul_f32_e32 v3, v3, v44
	v_dual_mul_f32 v5, v5, v26 :: v_dual_fmac_f32 v60, v16, v33
	v_dual_mul_f32 v17, v33, v17 :: v_dual_fmac_f32 v56, v4, v26
	;; [unrolled: 1-line block ×3, first 2 shown]
	v_dual_mov_b32 v49, v57 :: v_dual_fmac_f32 v20, v2, v44
	v_dual_mul_f32 v57, v7, v41 :: v_dual_fmac_f32 v54, v8, v42
	v_dual_mul_f32 v7, v40, v7 :: v_dual_fmac_f32 v58, v10, v18
	v_fma_f32 v42, v8, v43, -v9
	v_fma_f32 v2, v2, v45, -v3
	v_mul_f32_e32 v15, v31, v15
	v_fma_f32 v3, v4, v27, -v5
	v_fma_f32 v16, v16, v34, -v17
	;; [unrolled: 1-line block ×3, first 2 shown]
	v_dual_add_f32 v10, v2, v42 :: v_dual_mul_f32 v65, v39, v25
	v_fmac_f32_e32 v57, v6, v40
	v_fma_f32 v26, v6, v41, -v7
	v_mul_f32_e32 v13, v13, v29
	v_fmac_f32_e32 v63, v14, v31
	v_fma_f32 v5, v14, v32, -v15
	v_sub_f32_e32 v9, v20, v54
	v_add_f32_e32 v14, v4, v16
	v_fmac_f32_e32 v65, v38, v24
	v_mul_f32_e32 v39, v24, v39
	v_fma_f32 v6, v12, v30, -v13
	v_dual_mul_f32 v34, 0xbf0a6770, v9 :: v_dual_mul_f32 v37, v37, v22
	s_delay_alu instid0(VALU_DEP_4) | instskip(SKIP_2) | instid1(VALU_DEP_4)
	v_dual_sub_f32 v18, v64, v65 :: v_dual_sub_f32 v13, v58, v60
	v_add_f32_e32 v32, v64, v65
	v_add_f32_e32 v22, v20, v54
	v_fma_f32 v8, v36, v23, -v37
	v_dual_add_f32 v24, v56, v57 :: v_dual_sub_f32 v15, v62, v63
	v_dual_add_f32 v20, v20, v0 :: v_dual_sub_f32 v31, v6, v5
	v_mul_f32_e32 v80, 0xbf7d64f0, v18
	v_sub_f32_e32 v23, v2, v42
	v_add_f32_e32 v2, v2, v1
	v_fma_f32 v7, v38, v25, -v39
	v_dual_mul_f32 v44, 0xbf4178ce, v31 :: v_dual_sub_f32 v11, v56, v57
	v_dual_mul_f32 v38, 0xbf4178ce, v15 :: v_dual_add_f32 v17, v6, v5
	v_dual_sub_f32 v25, v3, v26 :: v_dual_mul_f32 v40, 0xbf0a6770, v23
	v_dual_add_f32 v27, v58, v60 :: v_dual_mul_f32 v68, 0x3f68dda4, v13
	v_dual_sub_f32 v29, v4, v16 :: v_dual_mul_f32 v70, 0xbf4178ce, v18
	v_add_f32_e32 v30, v62, v63
	v_dual_add_f32 v19, v8, v7 :: v_dual_mul_f32 v66, 0xbf7d64f0, v9
	v_dual_sub_f32 v33, v8, v7 :: v_dual_mul_f32 v72, 0x3e903f40, v25
	v_dual_mul_f32 v37, 0xbf7d64f0, v13 :: v_dual_add_f32 v2, v2, v3
	v_add_f32_e32 v12, v3, v26
	v_mul_f32_e32 v36, 0xbf68dda4, v11
	v_dual_mul_f32 v39, 0xbe903f40, v18 :: v_dual_mul_f32 v76, 0xbe903f40, v9
	s_delay_alu instid0(VALU_DEP_4)
	v_dual_mul_f32 v41, 0xbf68dda4, v25 :: v_dual_add_f32 v2, v2, v4
	v_dual_mul_f32 v73, 0x3f68dda4, v29 :: v_dual_mul_f32 v84, 0x3f68dda4, v31
	v_dual_mul_f32 v78, 0xbf4178ce, v13 :: v_dual_mul_f32 v91, 0xbf4178ce, v23
	v_dual_mul_f32 v88, 0x3f575c64, v14 :: v_dual_add_f32 v3, v20, v56
	v_dual_mul_f32 v89, 0xbf75a155, v17 :: v_dual_mul_f32 v98, 0xbf75a155, v14
	v_mul_f32_e32 v67, 0x3e903f40, v11
	v_dual_mul_f32 v90, 0x3ed4b147, v19 :: v_dual_fmamk_f32 v111, v14, 0x3ed4b147, v68
	v_mul_f32_e32 v95, 0x3f68dda4, v33
	s_delay_alu instid0(VALU_DEP_4)
	v_dual_mul_f32 v81, 0xbe903f40, v23 :: v_dual_fmamk_f32 v4, v13, 0xbe903f40, v98
	v_dual_mul_f32 v99, 0xbe11bafb, v17 :: v_dual_add_f32 v2, v2, v6
	v_mul_f32_e32 v71, 0xbf7d64f0, v23
	v_dual_mul_f32 v100, 0x3f575c64, v19 :: v_dual_add_f32 v3, v3, v58
	v_mul_f32_e32 v69, 0xbf0a6770, v15
	v_fmamk_f32 v56, v12, 0x3ed4b147, v36
	v_fma_f32 v116, 0x3ed4b147, v27, -v73
	v_fmac_f32_e32 v73, 0x3ed4b147, v27
	v_fmamk_f32 v119, v10, 0xbf75a155, v76
	v_fmamk_f32 v121, v14, 0xbf27a4f4, v78
	v_fma_f32 v76, 0xbf75a155, v10, -v76
	v_fmamk_f32 v101, v14, 0xbe11bafb, v37
	v_fma_f32 v78, 0xbf27a4f4, v14, -v78
	v_fmamk_f32 v132, v15, 0x3e903f40, v89
	v_fmamk_f32 v110, v12, 0xbf75a155, v67
	;; [unrolled: 1-line block ×3, first 2 shown]
	v_fma_f32 v68, 0x3ed4b147, v14, -v68
	v_fma_f32 v14, 0xbe11bafb, v14, -v37
	v_fmac_f32_e32 v90, 0x3f68dda4, v18
	v_dual_mul_f32 v96, 0x3ed4b147, v10 :: v_dual_fmamk_f32 v37, v32, 0x3ed4b147, v95
	v_mul_f32_e32 v79, 0x3f68dda4, v15
	v_dual_mul_f32 v45, 0xbe903f40, v33 :: v_dual_mul_f32 v94, 0xbe903f40, v31
	v_dual_mul_f32 v74, 0xbf0a6770, v31 :: v_dual_mul_f32 v93, 0xbf0a6770, v29
	;; [unrolled: 1-line block ×4, first 2 shown]
	v_mul_f32_e32 v23, 0xbf68dda4, v23
	v_fma_f32 v104, 0x3f575c64, v22, -v40
	v_mul_f32_e32 v75, 0xbf4178ce, v33
	v_fma_f32 v124, 0xbf75a155, v22, -v81
	v_fmamk_f32 v122, v17, 0x3ed4b147, v79
	v_fma_f32 v79, 0x3ed4b147, v17, -v79
	v_fmac_f32_e32 v81, 0xbf75a155, v22
	v_fmamk_f32 v58, v15, 0xbf7d64f0, v99
	v_fma_f32 v114, 0xbe11bafb, v22, -v71
	v_mul_f32_e32 v83, 0xbf4178ce, v29
	v_fmamk_f32 v102, v17, 0xbf27a4f4, v38
	v_fmamk_f32 v136, v18, 0xbf0a6770, v100
	;; [unrolled: 1-line block ×3, first 2 shown]
	v_fma_f32 v69, 0x3f575c64, v17, -v69
	v_fma_f32 v17, 0xbf27a4f4, v17, -v38
	v_fmamk_f32 v38, v9, 0x3f68dda4, v96
	v_fmac_f32_e32 v96, 0xbf68dda4, v9
	v_fmac_f32_e32 v100, 0x3f0a6770, v18
	;; [unrolled: 1-line block ×3, first 2 shown]
	v_mul_f32_e32 v85, 0xbf7d64f0, v33
	v_mul_f32_e32 v33, 0x3f0a6770, v33
	v_fmamk_f32 v20, v10, 0x3f575c64, v34
	v_dual_mul_f32 v92, 0x3f7d64f0, v25 :: v_dual_mul_f32 v31, 0x3f7d64f0, v31
	v_dual_fmamk_f32 v113, v19, 0xbf27a4f4, v70 :: v_dual_fmamk_f32 v134, v22, 0xbf27a4f4, v91
	v_fma_f32 v115, 0xbf75a155, v24, -v72
	v_fma_f32 v125, 0x3f575c64, v24, -v82
	;; [unrolled: 1-line block ×3, first 2 shown]
	v_dual_fmac_f32 v82, 0x3f575c64, v24 :: v_dual_add_f32 v3, v3, v62
	v_fmac_f32_e32 v84, 0x3ed4b147, v30
	v_fmamk_f32 v129, v9, 0x3f4178ce, v86
	v_fmamk_f32 v109, v10, 0xbe11bafb, v66
	;; [unrolled: 1-line block ×3, first 2 shown]
	v_fma_f32 v66, 0xbe11bafb, v10, -v66
	v_fma_f32 v10, 0x3f575c64, v10, -v34
	v_fmac_f32_e32 v71, 0xbe11bafb, v22
	v_fmac_f32_e32 v72, 0xbf75a155, v24
	v_dual_fmamk_f32 v34, v27, 0x3f575c64, v93 :: v_dual_add_f32 v81, v81, v0
	v_fmac_f32_e32 v86, 0xbf4178ce, v9
	v_fmamk_f32 v9, v22, 0x3ed4b147, v23
	v_fma_f32 v18, 0xbf27a4f4, v22, -v91
	v_mul_f32_e32 v25, 0xbf4178ce, v25
	v_fma_f32 v22, 0x3ed4b147, v22, -v23
	v_fmamk_f32 v23, v32, 0x3f575c64, v33
	v_dual_mul_f32 v87, 0xbe11bafb, v12 :: v_dual_add_f32 v20, v20, v1
	v_mul_f32_e32 v43, 0xbf7d64f0, v29
	v_mul_f32_e32 v29, 0x3e903f40, v29
	v_fmamk_f32 v103, v19, 0xbf75a155, v39
	v_fma_f32 v105, 0x3ed4b147, v24, -v41
	v_fma_f32 v107, 0xbf27a4f4, v30, -v44
	;; [unrolled: 1-line block ×3, first 2 shown]
	v_dual_fmamk_f32 v123, v19, 0xbe11bafb, v80 :: v_dual_add_f32 v66, v66, v1
	v_fma_f32 v126, 0xbf27a4f4, v27, -v83
	v_fma_f32 v77, 0x3f575c64, v12, -v77
	;; [unrolled: 1-line block ×3, first 2 shown]
	v_fmac_f32_e32 v83, 0xbf27a4f4, v27
	v_fmamk_f32 v130, v11, 0xbf7d64f0, v87
	v_fma_f32 v106, 0xbe11bafb, v27, -v43
	v_fmamk_f32 v135, v24, 0xbe11bafb, v92
	v_fma_f32 v67, 0xbf75a155, v12, -v67
	v_fma_f32 v12, 0x3ed4b147, v12, -v36
	v_fmamk_f32 v36, v30, 0xbf75a155, v94
	v_fma_f32 v70, 0xbf27a4f4, v19, -v70
	v_fmac_f32_e32 v74, 0x3f575c64, v30
	v_fma_f32 v19, 0xbf75a155, v19, -v39
	v_dual_fmamk_f32 v39, v11, 0x3f4178ce, v97 :: v_dual_add_f32 v62, v81, v82
	v_fmac_f32_e32 v87, 0x3f7d64f0, v11
	v_fmac_f32_e32 v97, 0xbf4178ce, v11
	v_dual_fmamk_f32 v131, v13, 0x3f0a6770, v88 :: v_dual_add_f32 v6, v86, v1
	v_dual_fmac_f32 v88, 0xbf0a6770, v13 :: v_dual_add_f32 v71, v71, v0
	v_dual_fmac_f32 v98, 0x3e903f40, v13 :: v_dual_add_f32 v9, v9, v0
	;; [unrolled: 1-line block ×3, first 2 shown]
	v_dual_fmamk_f32 v13, v27, 0xbf75a155, v29 :: v_dual_add_f32 v66, v66, v67
	v_fmac_f32_e32 v44, 0xbf27a4f4, v30
	v_fma_f32 v91, 0xbe11bafb, v24, -v92
	v_fma_f32 v92, 0x3f575c64, v27, -v93
	;; [unrolled: 1-line block ×3, first 2 shown]
	v_add_f32_e32 v76, v76, v1
	v_dual_add_f32 v38, v38, v1 :: v_dual_fmac_f32 v41, 0x3ed4b147, v24
	v_dual_add_f32 v10, v10, v1 :: v_dual_fmac_f32 v89, 0xbe903f40, v15
	v_add_f32_e32 v40, v40, v0
	v_fma_f32 v128, 0xbe11bafb, v32, -v85
	v_fmac_f32_e32 v85, 0xbe11bafb, v32
	v_dual_add_f32 v18, v18, v0 :: v_dual_fmamk_f32 v11, v24, 0xbf27a4f4, v25
	v_fma_f32 v24, 0xbf27a4f4, v24, -v25
	v_fmamk_f32 v15, v30, 0xbe11bafb, v31
	v_fma_f32 v25, 0xbf75a155, v27, -v29
	v_dual_add_f32 v20, v20, v56 :: v_dual_fmac_f32 v43, 0xbe11bafb, v27
	v_fma_f32 v27, 0xbe11bafb, v30, -v31
	v_add_f32_e32 v30, v104, v0
	v_add_f32_e32 v104, v129, v1
	v_fma_f32 v108, 0xbf75a155, v32, -v45
	v_fma_f32 v118, 0xbf27a4f4, v32, -v75
	v_dual_fmac_f32 v75, 0xbf27a4f4, v32 :: v_dual_add_f32 v56, v76, v77
	v_fma_f32 v94, 0x3ed4b147, v32, -v95
	v_fma_f32 v29, 0x3f575c64, v32, -v33
	v_add_f32_e32 v31, v109, v1
	v_dual_add_f32 v33, v119, v1 :: v_dual_add_f32 v76, v104, v130
	v_dual_fmac_f32 v45, 0xbf75a155, v32 :: v_dual_add_f32 v6, v6, v87
	v_add_f32_e32 v32, v114, v0
	v_add_f32_e32 v95, v124, v0
	;; [unrolled: 1-line block ×5, first 2 shown]
	v_dual_add_f32 v30, v31, v110 :: v_dual_add_f32 v31, v32, v115
	v_add_f32_e32 v32, v33, v120
	v_add_f32_e32 v67, v71, v72
	v_dual_add_f32 v9, v9, v11 :: v_dual_add_f32 v10, v10, v12
	v_add_f32_e32 v1, v96, v1
	v_dual_add_f32 v33, v95, v125 :: v_dual_add_f32 v8, v18, v91
	;; [unrolled: 2-line block ×3, first 2 shown]
	v_add_f32_e32 v3, v3, v64
	v_add_f32_e32 v0, v0, v24
	;; [unrolled: 1-line block ×7, first 2 shown]
	v_dual_add_f32 v32, v62, v83 :: v_dual_add_f32 v31, v56, v78
	v_add_f32_e32 v40, v67, v73
	v_dual_add_f32 v9, v9, v13 :: v_dual_add_f32 v10, v10, v14
	v_dual_add_f32 v2, v2, v7 :: v_dual_add_f32 v3, v3, v65
	v_dual_add_f32 v1, v1, v97 :: v_dual_add_f32 v4, v38, v4
	v_dual_add_f32 v30, v33, v126 :: v_dual_add_f32 v33, v76, v131
	v_dual_add_f32 v34, v77, v34 :: v_dual_add_f32 v39, v66, v68
	v_dual_add_f32 v0, v0, v25 :: v_dual_add_f32 v11, v11, v43
	v_add_f32_e32 v6, v6, v88
	v_add_f32_e32 v7, v8, v92
	v_dual_add_f32 v8, v12, v102 :: v_dual_add_f32 v25, v33, v132
	v_add_f32_e32 v12, v18, v107
	v_add_f32_e32 v18, v24, v122
	v_dual_add_f32 v24, v32, v84 :: v_dual_add_f32 v15, v9, v15
	v_dual_add_f32 v32, v40, v74 :: v_dual_add_f32 v17, v10, v17
	;; [unrolled: 1-line block ×5, first 2 shown]
	v_add_f32_e32 v30, v34, v36
	v_add_f32_e32 v34, v11, v44
	v_dual_add_f32 v11, v63, v3 :: v_dual_add_f32 v36, v6, v89
	s_delay_alu instid0(VALU_DEP_4)
	v_dual_add_f32 v0, v12, v108 :: v_dual_add_f32 v3, v13, v113
	v_add_f32_e32 v12, v16, v10
	v_lshlrev_b64_e32 v[46:47], 3, v[46:47]
	v_dual_add_f32 v22, v31, v79 :: v_dual_add_f32 v33, v4, v58
	v_add_f32_e32 v31, v39, v69
	v_add_f32_e32 v39, v1, v99
	v_dual_add_f32 v1, v8, v103 :: v_dual_add_f32 v2, v14, v118
	v_dual_add_f32 v9, v25, v133 :: v_dual_add_f32 v16, v26, v12
	v_add_f32_e32 v12, v15, v23
	v_add_f32_e32 v15, v17, v19
	;; [unrolled: 1-line block ×3, first 2 shown]
	s_delay_alu instid0(VALU_DEP_4)
	v_dual_add_f32 v14, v60, v11 :: v_dual_add_f32 v17, v42, v16
	v_lshlrev_b64_e32 v[48:49], 3, v[48:49]
	v_add_nc_u32_e32 v26, 0x1b8, v28
	v_add_co_u32 v46, vcc_lo, v35, v46
	v_dual_add_f32 v38, v7, v93 :: v_dual_add_f32 v5, v18, v123
	v_add_f32_e32 v18, v57, v14
	s_wait_alu 0xfffd
	v_add_co_ci_u32_e32 v47, vcc_lo, v59, v47, vcc_lo
	v_dual_add_f32 v7, v22, v80 :: v_dual_add_f32 v6, v24, v85
	v_mad_co_u64_u32 v[24:25], null, s8, v26, 0
	v_add_co_u32 v48, vcc_lo, v35, v48
	s_wait_alu 0xfffd
	v_add_co_ci_u32_e32 v49, vcc_lo, v59, v49, vcc_lo
	v_add_f32_e32 v14, v34, v45
	v_add_f32_e32 v16, v54, v18
	v_add_f32_e32 v22, v27, v29
	v_dual_add_f32 v4, v20, v128 :: v_dual_add_f32 v11, v31, v70
	v_add_nc_u32_e32 v27, 0x318, v28
	global_store_b64 v[46:47], v[16:17], off
	v_lshlrev_b64_e32 v[16:17], 3, v[50:51]
	v_mad_co_u64_u32 v[20:21], null, s9, v61, v[21:22]
	global_store_b64 v[48:49], v[14:15], off
	v_mov_b32_e32 v14, v25
	v_dual_add_f32 v8, v30, v37 :: v_dual_add_f32 v13, v33, v136
	v_add_co_u32 v16, vcc_lo, v35, v16
	s_delay_alu instid0(VALU_DEP_3)
	v_mad_co_u64_u32 v[14:15], null, s9, v26, v[14:15]
	s_wait_alu 0xfffd
	v_add_co_ci_u32_e32 v17, vcc_lo, v59, v17, vcc_lo
	v_mov_b32_e32 v56, v20
	v_lshlrev_b64_e32 v[20:21], 3, v[52:53]
	v_dual_add_f32 v10, v32, v75 :: v_dual_add_f32 v23, v39, v100
	v_mov_b32_e32 v25, v14
	global_store_b64 v[16:17], v[12:13], off
	v_lshlrev_b64_e32 v[12:13], 3, v[55:56]
	v_add_co_u32 v15, vcc_lo, v35, v20
	s_wait_alu 0xfffd
	v_add_co_ci_u32_e32 v16, vcc_lo, v59, v21, vcc_lo
	v_add_nc_u32_e32 v17, 0x210, v28
	s_delay_alu instid0(VALU_DEP_4) | instskip(SKIP_2) | instid1(VALU_DEP_3)
	v_add_co_u32 v12, vcc_lo, v35, v12
	s_wait_alu 0xfffd
	v_add_co_ci_u32_e32 v13, vcc_lo, v59, v13, vcc_lo
	v_mad_co_u64_u32 v[20:21], null, s8, v17, 0
	s_clause 0x1
	global_store_b64 v[15:16], v[10:11], off
	global_store_b64 v[12:13], v[8:9], off
	v_lshlrev_b64_e32 v[8:9], 3, v[24:25]
	v_add_nc_u32_e32 v24, 0x2c0, v28
	v_add_nc_u32_e32 v26, 0x268, v28
	;; [unrolled: 1-line block ×3, first 2 shown]
	v_mov_b32_e32 v12, v21
	s_delay_alu instid0(VALU_DEP_4) | instskip(NEXT) | instid1(VALU_DEP_4)
	v_mad_co_u64_u32 v[13:14], null, s8, v24, 0
	v_mad_co_u64_u32 v[10:11], null, s8, v26, 0
	v_add_co_u32 v8, vcc_lo, v35, v8
	s_wait_alu 0xfffd
	v_add_co_ci_u32_e32 v9, vcc_lo, v59, v9, vcc_lo
	s_delay_alu instid0(VALU_DEP_4) | instskip(NEXT) | instid1(VALU_DEP_4)
	v_mad_co_u64_u32 v[15:16], null, s9, v17, v[12:13]
	v_mad_co_u64_u32 v[11:12], null, s9, v26, v[11:12]
	v_mov_b32_e32 v12, v14
	v_mad_co_u64_u32 v[16:17], null, s8, v27, 0
	global_store_b64 v[8:9], v[6:7], off
	v_mov_b32_e32 v21, v15
	v_mad_co_u64_u32 v[24:25], null, s9, v24, v[12:13]
	v_mad_co_u64_u32 v[25:26], null, s8, v28, 0
	s_delay_alu instid0(VALU_DEP_3) | instskip(SKIP_3) | instid1(VALU_DEP_3)
	v_lshlrev_b64_e32 v[7:8], 3, v[20:21]
	v_mov_b32_e32 v6, v17
	v_lshlrev_b64_e32 v[9:10], 3, v[10:11]
	v_mov_b32_e32 v14, v24
	v_mad_co_u64_u32 v[20:21], null, s9, v27, v[6:7]
	v_mov_b32_e32 v6, v26
	v_add_co_u32 v7, vcc_lo, v35, v7
	v_add_f32_e32 v18, v38, v94
	s_wait_alu 0xfffd
	v_add_co_ci_u32_e32 v8, vcc_lo, v59, v8, vcc_lo
	v_mov_b32_e32 v17, v20
	v_mad_co_u64_u32 v[11:12], null, s9, v28, v[6:7]
	v_lshlrev_b64_e32 v[12:13], 3, v[13:14]
	v_add_co_u32 v9, vcc_lo, v35, v9
	s_delay_alu instid0(VALU_DEP_4)
	v_lshlrev_b64_e32 v[14:15], 3, v[16:17]
	s_wait_alu 0xfffd
	v_add_co_ci_u32_e32 v10, vcc_lo, v59, v10, vcc_lo
	v_mov_b32_e32 v26, v11
	v_add_co_u32 v11, vcc_lo, v35, v12
	s_wait_alu 0xfffd
	v_add_co_ci_u32_e32 v12, vcc_lo, v59, v13, vcc_lo
	s_delay_alu instid0(VALU_DEP_3) | instskip(SKIP_3) | instid1(VALU_DEP_3)
	v_lshlrev_b64_e32 v[16:17], 3, v[25:26]
	v_add_co_u32 v13, vcc_lo, v35, v14
	s_wait_alu 0xfffd
	v_add_co_ci_u32_e32 v14, vcc_lo, v59, v15, vcc_lo
	v_add_co_u32 v15, vcc_lo, v35, v16
	s_wait_alu 0xfffd
	v_add_co_ci_u32_e32 v16, vcc_lo, v59, v17, vcc_lo
	s_clause 0x4
	global_store_b64 v[7:8], v[4:5], off
	global_store_b64 v[9:10], v[18:19], off
	;; [unrolled: 1-line block ×5, first 2 shown]
.LBB0_27:
	s_nop 0
	s_sendmsg sendmsg(MSG_DEALLOC_VGPRS)
	s_endpgm
	.section	.rodata,"a",@progbits
	.p2align	6, 0x0
	.amdhsa_kernel fft_rtc_back_len968_factors_2_2_2_11_11_wgs_176_tpt_88_sp_ip_CI_sbrr_dirReg
		.amdhsa_group_segment_fixed_size 0
		.amdhsa_private_segment_fixed_size 0
		.amdhsa_kernarg_size 88
		.amdhsa_user_sgpr_count 2
		.amdhsa_user_sgpr_dispatch_ptr 0
		.amdhsa_user_sgpr_queue_ptr 0
		.amdhsa_user_sgpr_kernarg_segment_ptr 1
		.amdhsa_user_sgpr_dispatch_id 0
		.amdhsa_user_sgpr_private_segment_size 0
		.amdhsa_wavefront_size32 1
		.amdhsa_uses_dynamic_stack 0
		.amdhsa_enable_private_segment 0
		.amdhsa_system_sgpr_workgroup_id_x 1
		.amdhsa_system_sgpr_workgroup_id_y 0
		.amdhsa_system_sgpr_workgroup_id_z 0
		.amdhsa_system_sgpr_workgroup_info 0
		.amdhsa_system_vgpr_workitem_id 0
		.amdhsa_next_free_vgpr 137
		.amdhsa_next_free_sgpr 35
		.amdhsa_reserve_vcc 1
		.amdhsa_float_round_mode_32 0
		.amdhsa_float_round_mode_16_64 0
		.amdhsa_float_denorm_mode_32 3
		.amdhsa_float_denorm_mode_16_64 3
		.amdhsa_fp16_overflow 0
		.amdhsa_workgroup_processor_mode 1
		.amdhsa_memory_ordered 1
		.amdhsa_forward_progress 0
		.amdhsa_round_robin_scheduling 0
		.amdhsa_exception_fp_ieee_invalid_op 0
		.amdhsa_exception_fp_denorm_src 0
		.amdhsa_exception_fp_ieee_div_zero 0
		.amdhsa_exception_fp_ieee_overflow 0
		.amdhsa_exception_fp_ieee_underflow 0
		.amdhsa_exception_fp_ieee_inexact 0
		.amdhsa_exception_int_div_zero 0
	.end_amdhsa_kernel
	.text
.Lfunc_end0:
	.size	fft_rtc_back_len968_factors_2_2_2_11_11_wgs_176_tpt_88_sp_ip_CI_sbrr_dirReg, .Lfunc_end0-fft_rtc_back_len968_factors_2_2_2_11_11_wgs_176_tpt_88_sp_ip_CI_sbrr_dirReg
                                        ; -- End function
	.section	.AMDGPU.csdata,"",@progbits
; Kernel info:
; codeLenInByte = 9560
; NumSgprs: 37
; NumVgprs: 137
; ScratchSize: 0
; MemoryBound: 0
; FloatMode: 240
; IeeeMode: 1
; LDSByteSize: 0 bytes/workgroup (compile time only)
; SGPRBlocks: 4
; VGPRBlocks: 17
; NumSGPRsForWavesPerEU: 37
; NumVGPRsForWavesPerEU: 137
; Occupancy: 10
; WaveLimiterHint : 1
; COMPUTE_PGM_RSRC2:SCRATCH_EN: 0
; COMPUTE_PGM_RSRC2:USER_SGPR: 2
; COMPUTE_PGM_RSRC2:TRAP_HANDLER: 0
; COMPUTE_PGM_RSRC2:TGID_X_EN: 1
; COMPUTE_PGM_RSRC2:TGID_Y_EN: 0
; COMPUTE_PGM_RSRC2:TGID_Z_EN: 0
; COMPUTE_PGM_RSRC2:TIDIG_COMP_CNT: 0
	.text
	.p2alignl 7, 3214868480
	.fill 96, 4, 3214868480
	.type	__hip_cuid_97c6892f25b7efc5,@object ; @__hip_cuid_97c6892f25b7efc5
	.section	.bss,"aw",@nobits
	.globl	__hip_cuid_97c6892f25b7efc5
__hip_cuid_97c6892f25b7efc5:
	.byte	0                               ; 0x0
	.size	__hip_cuid_97c6892f25b7efc5, 1

	.ident	"AMD clang version 19.0.0git (https://github.com/RadeonOpenCompute/llvm-project roc-6.4.0 25133 c7fe45cf4b819c5991fe208aaa96edf142730f1d)"
	.section	".note.GNU-stack","",@progbits
	.addrsig
	.addrsig_sym __hip_cuid_97c6892f25b7efc5
	.amdgpu_metadata
---
amdhsa.kernels:
  - .args:
      - .actual_access:  read_only
        .address_space:  global
        .offset:         0
        .size:           8
        .value_kind:     global_buffer
      - .offset:         8
        .size:           8
        .value_kind:     by_value
      - .actual_access:  read_only
        .address_space:  global
        .offset:         16
        .size:           8
        .value_kind:     global_buffer
      - .actual_access:  read_only
        .address_space:  global
        .offset:         24
        .size:           8
        .value_kind:     global_buffer
      - .offset:         32
        .size:           8
        .value_kind:     by_value
      - .actual_access:  read_only
        .address_space:  global
        .offset:         40
        .size:           8
        .value_kind:     global_buffer
      - .actual_access:  read_only
        .address_space:  global
        .offset:         48
        .size:           8
        .value_kind:     global_buffer
      - .offset:         56
        .size:           4
        .value_kind:     by_value
      - .actual_access:  read_only
        .address_space:  global
        .offset:         64
        .size:           8
        .value_kind:     global_buffer
      - .actual_access:  read_only
        .address_space:  global
        .offset:         72
        .size:           8
        .value_kind:     global_buffer
      - .address_space:  global
        .offset:         80
        .size:           8
        .value_kind:     global_buffer
    .group_segment_fixed_size: 0
    .kernarg_segment_align: 8
    .kernarg_segment_size: 88
    .language:       OpenCL C
    .language_version:
      - 2
      - 0
    .max_flat_workgroup_size: 176
    .name:           fft_rtc_back_len968_factors_2_2_2_11_11_wgs_176_tpt_88_sp_ip_CI_sbrr_dirReg
    .private_segment_fixed_size: 0
    .sgpr_count:     37
    .sgpr_spill_count: 0
    .symbol:         fft_rtc_back_len968_factors_2_2_2_11_11_wgs_176_tpt_88_sp_ip_CI_sbrr_dirReg.kd
    .uniform_work_group_size: 1
    .uses_dynamic_stack: false
    .vgpr_count:     137
    .vgpr_spill_count: 0
    .wavefront_size: 32
    .workgroup_processor_mode: 1
amdhsa.target:   amdgcn-amd-amdhsa--gfx1201
amdhsa.version:
  - 1
  - 2
...

	.end_amdgpu_metadata
